;; amdgpu-corpus repo=ROCm/rocFFT kind=compiled arch=gfx906 opt=O3
	.text
	.amdgcn_target "amdgcn-amd-amdhsa--gfx906"
	.amdhsa_code_object_version 6
	.protected	fft_rtc_back_len120_factors_6_10_2_wgs_60_tpt_12_halfLds_dp_op_CI_CI_unitstride_sbrr_C2R_dirReg ; -- Begin function fft_rtc_back_len120_factors_6_10_2_wgs_60_tpt_12_halfLds_dp_op_CI_CI_unitstride_sbrr_C2R_dirReg
	.globl	fft_rtc_back_len120_factors_6_10_2_wgs_60_tpt_12_halfLds_dp_op_CI_CI_unitstride_sbrr_C2R_dirReg
	.p2align	8
	.type	fft_rtc_back_len120_factors_6_10_2_wgs_60_tpt_12_halfLds_dp_op_CI_CI_unitstride_sbrr_C2R_dirReg,@function
fft_rtc_back_len120_factors_6_10_2_wgs_60_tpt_12_halfLds_dp_op_CI_CI_unitstride_sbrr_C2R_dirReg: ; @fft_rtc_back_len120_factors_6_10_2_wgs_60_tpt_12_halfLds_dp_op_CI_CI_unitstride_sbrr_C2R_dirReg
; %bb.0:
	s_load_dwordx4 s[8:11], s[4:5], 0x58
	s_load_dwordx4 s[12:15], s[4:5], 0x0
	;; [unrolled: 1-line block ×3, first 2 shown]
	v_mul_u32_u24_e32 v1, 0x1556, v0
	v_lshrrev_b32_e32 v1, 16, v1
	v_mad_u64_u32 v[3:4], s[0:1], s6, 5, v[1:2]
	v_mov_b32_e32 v5, 0
	v_mov_b32_e32 v1, 0
	;; [unrolled: 1-line block ×3, first 2 shown]
	s_waitcnt lgkmcnt(0)
	v_cmp_lt_u64_e64 s[0:1], s[14:15], 2
	v_mov_b32_e32 v2, 0
	v_mov_b32_e32 v25, v2
	;; [unrolled: 1-line block ×3, first 2 shown]
	s_and_b64 vcc, exec, s[0:1]
	v_mov_b32_e32 v24, v1
	v_mov_b32_e32 v26, v3
	s_cbranch_vccnz .LBB0_8
; %bb.1:
	s_load_dwordx2 s[0:1], s[4:5], 0x10
	s_add_u32 s2, s18, 8
	s_addc_u32 s3, s19, 0
	s_add_u32 s6, s16, 8
	v_mov_b32_e32 v1, 0
	s_addc_u32 s7, s17, 0
	v_mov_b32_e32 v2, 0
	s_waitcnt lgkmcnt(0)
	s_add_u32 s20, s0, 8
	v_mov_b32_e32 v25, v2
	v_mov_b32_e32 v8, v4
	s_addc_u32 s21, s1, 0
	s_mov_b64 s[22:23], 1
	v_mov_b32_e32 v24, v1
	v_mov_b32_e32 v7, v3
.LBB0_2:                                ; =>This Inner Loop Header: Depth=1
	s_load_dwordx2 s[24:25], s[20:21], 0x0
                                        ; implicit-def: $vgpr26_vgpr27
	s_waitcnt lgkmcnt(0)
	v_or_b32_e32 v6, s25, v8
	v_cmp_ne_u64_e32 vcc, 0, v[5:6]
	s_and_saveexec_b64 s[0:1], vcc
	s_xor_b64 s[26:27], exec, s[0:1]
	s_cbranch_execz .LBB0_4
; %bb.3:                                ;   in Loop: Header=BB0_2 Depth=1
	v_cvt_f32_u32_e32 v4, s24
	v_cvt_f32_u32_e32 v6, s25
	s_sub_u32 s0, 0, s24
	s_subb_u32 s1, 0, s25
	v_mac_f32_e32 v4, 0x4f800000, v6
	v_rcp_f32_e32 v4, v4
	v_mul_f32_e32 v4, 0x5f7ffffc, v4
	v_mul_f32_e32 v6, 0x2f800000, v4
	v_trunc_f32_e32 v6, v6
	v_mac_f32_e32 v4, 0xcf800000, v6
	v_cvt_u32_f32_e32 v6, v6
	v_cvt_u32_f32_e32 v4, v4
	v_mul_lo_u32 v9, s0, v6
	v_mul_hi_u32 v10, s0, v4
	v_mul_lo_u32 v12, s1, v4
	v_mul_lo_u32 v11, s0, v4
	v_add_u32_e32 v9, v10, v9
	v_add_u32_e32 v9, v9, v12
	v_mul_hi_u32 v10, v4, v11
	v_mul_lo_u32 v12, v4, v9
	v_mul_hi_u32 v14, v4, v9
	v_mul_hi_u32 v13, v6, v11
	v_mul_lo_u32 v11, v6, v11
	v_mul_hi_u32 v15, v6, v9
	v_add_co_u32_e32 v10, vcc, v10, v12
	v_addc_co_u32_e32 v12, vcc, 0, v14, vcc
	v_mul_lo_u32 v9, v6, v9
	v_add_co_u32_e32 v10, vcc, v10, v11
	v_addc_co_u32_e32 v10, vcc, v12, v13, vcc
	v_addc_co_u32_e32 v11, vcc, 0, v15, vcc
	v_add_co_u32_e32 v9, vcc, v10, v9
	v_addc_co_u32_e32 v10, vcc, 0, v11, vcc
	v_add_co_u32_e32 v4, vcc, v4, v9
	v_addc_co_u32_e32 v6, vcc, v6, v10, vcc
	v_mul_lo_u32 v9, s0, v6
	v_mul_hi_u32 v10, s0, v4
	v_mul_lo_u32 v11, s1, v4
	v_mul_lo_u32 v12, s0, v4
	v_add_u32_e32 v9, v10, v9
	v_add_u32_e32 v9, v9, v11
	v_mul_lo_u32 v13, v4, v9
	v_mul_hi_u32 v14, v4, v12
	v_mul_hi_u32 v15, v4, v9
	;; [unrolled: 1-line block ×3, first 2 shown]
	v_mul_lo_u32 v12, v6, v12
	v_mul_hi_u32 v10, v6, v9
	v_add_co_u32_e32 v13, vcc, v14, v13
	v_addc_co_u32_e32 v14, vcc, 0, v15, vcc
	v_mul_lo_u32 v9, v6, v9
	v_add_co_u32_e32 v12, vcc, v13, v12
	v_addc_co_u32_e32 v11, vcc, v14, v11, vcc
	v_addc_co_u32_e32 v10, vcc, 0, v10, vcc
	v_add_co_u32_e32 v9, vcc, v11, v9
	v_addc_co_u32_e32 v10, vcc, 0, v10, vcc
	v_add_co_u32_e32 v4, vcc, v4, v9
	v_addc_co_u32_e32 v6, vcc, v6, v10, vcc
	v_mad_u64_u32 v[9:10], s[0:1], v7, v6, 0
	v_mul_hi_u32 v11, v7, v4
	v_add_co_u32_e32 v13, vcc, v11, v9
	v_addc_co_u32_e32 v14, vcc, 0, v10, vcc
	v_mad_u64_u32 v[9:10], s[0:1], v8, v4, 0
	v_mad_u64_u32 v[11:12], s[0:1], v8, v6, 0
	v_add_co_u32_e32 v4, vcc, v13, v9
	v_addc_co_u32_e32 v4, vcc, v14, v10, vcc
	v_addc_co_u32_e32 v6, vcc, 0, v12, vcc
	v_add_co_u32_e32 v4, vcc, v4, v11
	v_addc_co_u32_e32 v6, vcc, 0, v6, vcc
	v_mul_lo_u32 v11, s25, v4
	v_mul_lo_u32 v12, s24, v6
	v_mad_u64_u32 v[9:10], s[0:1], s24, v4, 0
	v_add3_u32 v10, v10, v12, v11
	v_sub_u32_e32 v11, v8, v10
	v_mov_b32_e32 v12, s25
	v_sub_co_u32_e32 v9, vcc, v7, v9
	v_subb_co_u32_e64 v11, s[0:1], v11, v12, vcc
	v_subrev_co_u32_e64 v12, s[0:1], s24, v9
	v_subbrev_co_u32_e64 v11, s[0:1], 0, v11, s[0:1]
	v_cmp_le_u32_e64 s[0:1], s25, v11
	v_cndmask_b32_e64 v13, 0, -1, s[0:1]
	v_cmp_le_u32_e64 s[0:1], s24, v12
	v_cndmask_b32_e64 v12, 0, -1, s[0:1]
	v_cmp_eq_u32_e64 s[0:1], s25, v11
	v_cndmask_b32_e64 v11, v13, v12, s[0:1]
	v_add_co_u32_e64 v12, s[0:1], 2, v4
	v_addc_co_u32_e64 v13, s[0:1], 0, v6, s[0:1]
	v_add_co_u32_e64 v14, s[0:1], 1, v4
	v_addc_co_u32_e64 v15, s[0:1], 0, v6, s[0:1]
	v_subb_co_u32_e32 v10, vcc, v8, v10, vcc
	v_cmp_ne_u32_e64 s[0:1], 0, v11
	v_cmp_le_u32_e32 vcc, s25, v10
	v_cndmask_b32_e64 v11, v15, v13, s[0:1]
	v_cndmask_b32_e64 v13, 0, -1, vcc
	v_cmp_le_u32_e32 vcc, s24, v9
	v_cndmask_b32_e64 v9, 0, -1, vcc
	v_cmp_eq_u32_e32 vcc, s25, v10
	v_cndmask_b32_e32 v9, v13, v9, vcc
	v_cmp_ne_u32_e32 vcc, 0, v9
	v_cndmask_b32_e32 v27, v6, v11, vcc
	v_cndmask_b32_e64 v6, v14, v12, s[0:1]
	v_cndmask_b32_e32 v26, v4, v6, vcc
.LBB0_4:                                ;   in Loop: Header=BB0_2 Depth=1
	s_andn2_saveexec_b64 s[0:1], s[26:27]
	s_cbranch_execz .LBB0_6
; %bb.5:                                ;   in Loop: Header=BB0_2 Depth=1
	v_cvt_f32_u32_e32 v4, s24
	s_sub_i32 s26, 0, s24
	v_mov_b32_e32 v27, v5
	v_rcp_iflag_f32_e32 v4, v4
	v_mul_f32_e32 v4, 0x4f7ffffe, v4
	v_cvt_u32_f32_e32 v4, v4
	v_mul_lo_u32 v6, s26, v4
	v_mul_hi_u32 v6, v4, v6
	v_add_u32_e32 v4, v4, v6
	v_mul_hi_u32 v4, v7, v4
	v_mul_lo_u32 v6, v4, s24
	v_add_u32_e32 v9, 1, v4
	v_sub_u32_e32 v6, v7, v6
	v_subrev_u32_e32 v10, s24, v6
	v_cmp_le_u32_e32 vcc, s24, v6
	v_cndmask_b32_e32 v6, v6, v10, vcc
	v_cndmask_b32_e32 v4, v4, v9, vcc
	v_add_u32_e32 v9, 1, v4
	v_cmp_le_u32_e32 vcc, s24, v6
	v_cndmask_b32_e32 v26, v4, v9, vcc
.LBB0_6:                                ;   in Loop: Header=BB0_2 Depth=1
	s_or_b64 exec, exec, s[0:1]
	v_mul_lo_u32 v4, v27, s24
	v_mul_lo_u32 v6, v26, s25
	v_mad_u64_u32 v[9:10], s[0:1], v26, s24, 0
	s_load_dwordx2 s[0:1], s[6:7], 0x0
	s_load_dwordx2 s[24:25], s[2:3], 0x0
	v_add3_u32 v4, v10, v6, v4
	v_sub_co_u32_e32 v6, vcc, v7, v9
	v_subb_co_u32_e32 v4, vcc, v8, v4, vcc
	s_waitcnt lgkmcnt(0)
	v_mul_lo_u32 v7, s0, v4
	v_mul_lo_u32 v8, s1, v6
	v_mad_u64_u32 v[1:2], s[0:1], s0, v6, v[1:2]
	s_add_u32 s22, s22, 1
	s_addc_u32 s23, s23, 0
	s_add_u32 s2, s2, 8
	v_mul_lo_u32 v4, s24, v4
	v_mul_lo_u32 v9, s25, v6
	v_mad_u64_u32 v[24:25], s[0:1], s24, v6, v[24:25]
	v_add3_u32 v2, v8, v2, v7
	s_addc_u32 s3, s3, 0
	v_mov_b32_e32 v6, s14
	s_add_u32 s6, s6, 8
	v_mov_b32_e32 v7, s15
	s_addc_u32 s7, s7, 0
	v_cmp_ge_u64_e32 vcc, s[22:23], v[6:7]
	s_add_u32 s20, s20, 8
	v_add3_u32 v25, v9, v25, v4
	s_addc_u32 s21, s21, 0
	s_cbranch_vccnz .LBB0_8
; %bb.7:                                ;   in Loop: Header=BB0_2 Depth=1
	v_mov_b32_e32 v7, v26
	v_mov_b32_e32 v8, v27
	s_branch .LBB0_2
.LBB0_8:
	s_mov_b32 s2, 0xcccccccd
	s_load_dwordx2 s[0:1], s[4:5], 0x28
	v_mul_hi_u32 v4, v3, s2
	s_lshl_b64 s[6:7], s[14:15], 3
	s_add_u32 s2, s18, s6
	s_addc_u32 s3, s19, s7
	v_lshrrev_b32_e32 v4, 2, v4
	v_lshl_add_u32 v4, v4, 2, v4
	s_waitcnt lgkmcnt(0)
	v_cmp_gt_u64_e32 vcc, s[0:1], v[26:27]
	v_cmp_le_u64_e64 s[0:1], s[0:1], v[26:27]
	v_sub_u32_e32 v3, v3, v4
                                        ; implicit-def: $vgpr28
                                        ; implicit-def: $vgpr4_vgpr5
	s_and_saveexec_b64 s[4:5], s[0:1]
	s_xor_b64 s[0:1], exec, s[4:5]
; %bb.9:
	s_mov_b32 s4, 0x15555556
	v_mul_hi_u32 v1, v0, s4
	v_mov_b32_e32 v29, 0
	v_mul_u32_u24_e32 v1, 12, v1
	v_sub_u32_e32 v28, v0, v1
	v_mov_b32_e32 v4, v28
	v_mov_b32_e32 v5, v29
                                        ; implicit-def: $vgpr0
                                        ; implicit-def: $vgpr1_vgpr2
; %bb.10:
	s_or_saveexec_b64 s[4:5], s[0:1]
	s_load_dwordx2 s[2:3], s[2:3], 0x0
	v_mul_u32_u24_e32 v34, 0x79, v3
	v_lshlrev_b32_e32 v39, 4, v34
	s_xor_b64 exec, exec, s[4:5]
	s_cbranch_execz .LBB0_14
; %bb.11:
	s_add_u32 s0, s16, s6
	s_addc_u32 s1, s17, s7
	s_load_dwordx2 s[0:1], s[0:1], 0x0
	s_mov_b32 s6, 0x15555556
	v_mul_hi_u32 v5, v0, s6
	v_mov_b32_e32 v29, 0
	s_waitcnt lgkmcnt(0)
	v_mul_lo_u32 v6, s1, v26
	v_mul_lo_u32 v7, s0, v27
	v_mad_u64_u32 v[3:4], s[0:1], s0, v26, 0
	v_mul_u32_u24_e32 v5, 12, v5
	v_sub_u32_e32 v28, v0, v5
	v_add3_u32 v4, v4, v7, v6
	v_lshlrev_b64 v[3:4], 4, v[3:4]
	v_mov_b32_e32 v0, s9
	v_add_co_u32_e64 v3, s[0:1], s8, v3
	v_addc_co_u32_e64 v4, s[0:1], v0, v4, s[0:1]
	v_lshlrev_b64 v[0:1], 4, v[1:2]
	v_lshlrev_b32_e32 v2, 4, v28
	v_add_co_u32_e64 v0, s[0:1], v3, v0
	v_addc_co_u32_e64 v1, s[0:1], v4, v1, s[0:1]
	v_add_co_u32_e64 v52, s[0:1], v0, v2
	v_addc_co_u32_e64 v53, s[0:1], 0, v1, s[0:1]
	global_load_dwordx4 v[3:6], v[52:53], off
	global_load_dwordx4 v[7:10], v[52:53], off offset:192
	global_load_dwordx4 v[11:14], v[52:53], off offset:384
	;; [unrolled: 1-line block ×9, first 2 shown]
	v_add3_u32 v2, 0, v39, v2
	v_cmp_eq_u32_e64 s[0:1], 11, v28
	s_waitcnt vmcnt(9)
	ds_write_b128 v2, v[3:6]
	s_waitcnt vmcnt(8)
	ds_write_b128 v2, v[7:10] offset:192
	s_waitcnt vmcnt(7)
	ds_write_b128 v2, v[11:14] offset:384
	;; [unrolled: 2-line block ×9, first 2 shown]
	v_mov_b32_e32 v4, v28
	v_mov_b32_e32 v5, v29
	s_and_saveexec_b64 s[6:7], s[0:1]
	s_cbranch_execz .LBB0_13
; %bb.12:
	global_load_dwordx4 v[6:9], v[0:1], off offset:1920
	v_mov_b32_e32 v4, 11
	v_mov_b32_e32 v5, 0
	;; [unrolled: 1-line block ×3, first 2 shown]
	s_waitcnt vmcnt(0)
	ds_write_b128 v2, v[6:9] offset:1744
.LBB0_13:
	s_or_b64 exec, exec, s[6:7]
.LBB0_14:
	s_or_b64 exec, exec, s[4:5]
	v_lshl_add_u32 v38, v34, 4, 0
	v_lshlrev_b32_e32 v0, 4, v28
	v_add_u32_e32 v40, v38, v0
	s_waitcnt lgkmcnt(0)
	; wave barrier
	s_waitcnt lgkmcnt(0)
	v_sub_u32_e32 v10, v38, v0
	ds_read_b64 v[6:7], v40
	ds_read_b64 v[8:9], v10 offset:1920
	v_lshlrev_b64 v[30:31], 4, v[4:5]
	v_cmp_ne_u32_e64 s[0:1], 0, v28
	s_waitcnt lgkmcnt(0)
	v_add_f64 v[0:1], v[6:7], v[8:9]
	v_add_f64 v[2:3], v[6:7], -v[8:9]
	s_and_saveexec_b64 s[4:5], s[0:1]
	s_xor_b64 s[4:5], exec, s[4:5]
	s_cbranch_execz .LBB0_16
; %bb.15:
	v_mov_b32_e32 v1, s13
	v_add_co_u32_e64 v0, s[0:1], s12, v30
	v_addc_co_u32_e64 v1, s[0:1], v1, v31, s[0:1]
	global_load_dwordx4 v[2:5], v[0:1], off offset:1824
	ds_read_b64 v[0:1], v10 offset:1928
	ds_read_b64 v[11:12], v40 offset:8
	v_add_f64 v[13:14], v[6:7], v[8:9]
	v_add_f64 v[8:9], v[6:7], -v[8:9]
	s_waitcnt lgkmcnt(0)
	v_add_f64 v[15:16], v[0:1], v[11:12]
	v_add_f64 v[0:1], v[11:12], -v[0:1]
	s_waitcnt vmcnt(0)
	v_fma_f64 v[6:7], -v[8:9], v[4:5], v[13:14]
	v_fma_f64 v[11:12], v[15:16], v[4:5], -v[0:1]
	v_fma_f64 v[13:14], v[8:9], v[4:5], v[13:14]
	v_fma_f64 v[17:18], v[15:16], v[4:5], v[0:1]
	;; [unrolled: 1-line block ×4, first 2 shown]
	v_fma_f64 v[0:1], -v[15:16], v[2:3], v[13:14]
	v_fma_f64 v[2:3], v[8:9], v[2:3], v[17:18]
	ds_write_b128 v10, v[4:7] offset:1920
.LBB0_16:
	s_andn2_saveexec_b64 s[0:1], s[4:5]
	s_cbranch_execz .LBB0_18
; %bb.17:
	ds_read_b128 v[4:7], v38 offset:960
	s_waitcnt lgkmcnt(0)
	v_add_f64 v[4:5], v[4:5], v[4:5]
	v_mul_f64 v[6:7], v[6:7], -2.0
	ds_write_b128 v38, v[4:7] offset:960
.LBB0_18:
	s_or_b64 exec, exec, s[0:1]
	v_mov_b32_e32 v29, 0
	s_add_u32 s0, s12, 0x720
	v_lshlrev_b64 v[32:33], 4, v[28:29]
	s_addc_u32 s1, s13, 0
	v_mov_b32_e32 v4, s1
	v_add_co_u32_e64 v35, s[0:1], s0, v32
	v_addc_co_u32_e64 v36, s[0:1], v4, v33, s[0:1]
	global_load_dwordx4 v[4:7], v[35:36], off offset:192
	global_load_dwordx4 v[11:14], v[35:36], off offset:384
	ds_write_b128 v40, v[0:3]
	ds_read_b128 v[0:3], v40 offset:192
	ds_read_b128 v[15:18], v10 offset:1728
	global_load_dwordx4 v[19:22], v[35:36], off offset:576
	s_movk_i32 s0, 0x50
	s_mov_b32 s4, 0xe8584caa
	s_mov_b32 s5, 0xbfebb67a
	s_waitcnt lgkmcnt(0)
	v_add_f64 v[8:9], v[0:1], v[15:16]
	v_add_f64 v[41:42], v[17:18], v[2:3]
	v_add_f64 v[15:16], v[0:1], -v[15:16]
	v_add_f64 v[0:1], v[2:3], -v[17:18]
	s_mov_b32 s7, 0x3febb67a
	s_mov_b32 s6, s4
	s_waitcnt vmcnt(2)
	v_fma_f64 v[2:3], v[15:16], v[6:7], v[8:9]
	v_fma_f64 v[17:18], v[41:42], v[6:7], v[0:1]
	v_fma_f64 v[8:9], -v[15:16], v[6:7], v[8:9]
	v_fma_f64 v[43:44], v[41:42], v[6:7], -v[0:1]
	v_fma_f64 v[0:1], -v[41:42], v[4:5], v[2:3]
	v_fma_f64 v[2:3], v[15:16], v[4:5], v[17:18]
	v_fma_f64 v[6:7], v[41:42], v[4:5], v[8:9]
	;; [unrolled: 1-line block ×3, first 2 shown]
	ds_write_b128 v40, v[0:3] offset:192
	ds_write_b128 v10, v[6:9] offset:1728
	ds_read_b128 v[0:3], v40 offset:384
	ds_read_b128 v[4:7], v10 offset:1536
	global_load_dwordx4 v[15:18], v[35:36], off offset:768
	s_waitcnt lgkmcnt(0)
	v_add_f64 v[8:9], v[0:1], v[4:5]
	v_add_f64 v[35:36], v[6:7], v[2:3]
	v_add_f64 v[41:42], v[0:1], -v[4:5]
	v_add_f64 v[0:1], v[2:3], -v[6:7]
	s_waitcnt vmcnt(2)
	v_fma_f64 v[2:3], v[41:42], v[13:14], v[8:9]
	v_fma_f64 v[4:5], v[35:36], v[13:14], v[0:1]
	v_fma_f64 v[6:7], -v[41:42], v[13:14], v[8:9]
	v_fma_f64 v[8:9], v[35:36], v[13:14], -v[0:1]
	v_fma_f64 v[0:1], -v[35:36], v[11:12], v[2:3]
	v_fma_f64 v[2:3], v[41:42], v[11:12], v[4:5]
	v_fma_f64 v[4:5], v[35:36], v[11:12], v[6:7]
	;; [unrolled: 1-line block ×3, first 2 shown]
	ds_write_b128 v40, v[0:3] offset:384
	ds_write_b128 v10, v[4:7] offset:1536
	ds_read_b128 v[0:3], v40 offset:576
	ds_read_b128 v[4:7], v10 offset:1344
	s_waitcnt lgkmcnt(0)
	v_add_f64 v[8:9], v[0:1], v[4:5]
	v_add_f64 v[11:12], v[6:7], v[2:3]
	v_add_f64 v[13:14], v[0:1], -v[4:5]
	v_add_f64 v[0:1], v[2:3], -v[6:7]
	s_waitcnt vmcnt(1)
	v_fma_f64 v[2:3], v[13:14], v[21:22], v[8:9]
	v_fma_f64 v[4:5], v[11:12], v[21:22], v[0:1]
	v_fma_f64 v[6:7], -v[13:14], v[21:22], v[8:9]
	v_fma_f64 v[8:9], v[11:12], v[21:22], -v[0:1]
	v_fma_f64 v[0:1], -v[11:12], v[19:20], v[2:3]
	v_fma_f64 v[2:3], v[13:14], v[19:20], v[4:5]
	v_fma_f64 v[4:5], v[11:12], v[19:20], v[6:7]
	;; [unrolled: 1-line block ×3, first 2 shown]
	ds_write_b128 v40, v[0:3] offset:576
	ds_write_b128 v10, v[4:7] offset:1344
	ds_read_b128 v[0:3], v40 offset:768
	ds_read_b128 v[4:7], v10 offset:1152
	s_waitcnt lgkmcnt(0)
	v_add_f64 v[8:9], v[0:1], v[4:5]
	v_add_f64 v[11:12], v[6:7], v[2:3]
	v_add_f64 v[13:14], v[0:1], -v[4:5]
	v_add_f64 v[0:1], v[2:3], -v[6:7]
	s_waitcnt vmcnt(0)
	v_fma_f64 v[2:3], v[13:14], v[17:18], v[8:9]
	v_fma_f64 v[4:5], v[11:12], v[17:18], v[0:1]
	v_fma_f64 v[6:7], -v[13:14], v[17:18], v[8:9]
	v_fma_f64 v[8:9], v[11:12], v[17:18], -v[0:1]
	v_lshl_add_u32 v17, v28, 4, 0
	v_add_u32_e32 v41, v17, v39
	v_mad_u32_u24 v35, v28, s0, v17
	v_add_u32_e32 v78, v35, v39
	v_fma_f64 v[0:1], -v[11:12], v[15:16], v[2:3]
	v_fma_f64 v[2:3], v[13:14], v[15:16], v[4:5]
	v_fma_f64 v[4:5], v[11:12], v[15:16], v[6:7]
	;; [unrolled: 1-line block ×3, first 2 shown]
	ds_write_b128 v40, v[0:3] offset:768
	ds_write_b128 v10, v[4:7] offset:1152
	s_waitcnt lgkmcnt(0)
	; wave barrier
	s_waitcnt lgkmcnt(0)
	s_waitcnt lgkmcnt(0)
	; wave barrier
	s_waitcnt lgkmcnt(0)
	ds_read_b128 v[42:45], v41 offset:960
	ds_read_b128 v[46:49], v41 offset:1600
	ds_read_b128 v[50:53], v40
	ds_read_b128 v[0:3], v41 offset:192
	ds_read_b128 v[54:57], v41 offset:640
	;; [unrolled: 1-line block ×9, first 2 shown]
	s_waitcnt lgkmcnt(10)
	v_add_f64 v[36:37], v[44:45], v[48:49]
	s_waitcnt lgkmcnt(7)
	v_add_f64 v[66:67], v[50:51], v[54:55]
	v_add_f64 v[74:75], v[42:43], v[46:47]
	v_add_f64 v[76:77], v[42:43], -v[46:47]
	v_add_f64 v[68:69], v[52:53], v[56:57]
	s_waitcnt lgkmcnt(5)
	v_add_f64 v[70:71], v[54:55], v[58:59]
	v_add_f64 v[72:73], v[56:57], -v[60:61]
	v_add_f64 v[56:57], v[56:57], v[60:61]
	s_waitcnt lgkmcnt(3)
	v_fma_f64 v[36:37], v[36:37], -0.5, v[64:65]
	v_add_f64 v[54:55], v[54:55], -v[58:59]
	v_add_f64 v[42:43], v[62:63], v[42:43]
	v_add_f64 v[64:65], v[64:65], v[44:45]
	v_add_f64 v[44:45], v[44:45], -v[48:49]
	v_add_f64 v[58:59], v[66:67], v[58:59]
	v_fma_f64 v[62:63], v[74:75], -0.5, v[62:63]
	v_fma_f64 v[50:51], v[70:71], -0.5, v[50:51]
	v_fma_f64 v[66:67], v[76:77], s[6:7], v[36:37]
	v_fma_f64 v[36:37], v[76:77], s[4:5], v[36:37]
	v_add_f64 v[46:47], v[42:43], v[46:47]
	v_fma_f64 v[42:43], v[56:57], -0.5, v[52:53]
	v_add_f64 v[48:49], v[64:65], v[48:49]
	v_add_f64 v[60:61], v[68:69], v[60:61]
	v_fma_f64 v[52:53], v[44:45], s[4:5], v[62:63]
	v_fma_f64 v[62:63], v[44:45], s[6:7], v[62:63]
	v_mul_f64 v[64:65], v[66:67], s[4:5]
	v_mul_f64 v[66:67], v[66:67], 0.5
	v_mul_f64 v[70:71], v[36:37], s[4:5]
	v_mul_f64 v[36:37], v[36:37], -0.5
	v_fma_f64 v[56:57], v[72:73], s[4:5], v[50:51]
	v_fma_f64 v[68:69], v[54:55], s[6:7], v[42:43]
	;; [unrolled: 1-line block ×4, first 2 shown]
	v_fma_f64 v[54:55], v[52:53], 0.5, v[64:65]
	v_fma_f64 v[64:65], v[52:53], s[6:7], v[66:67]
	v_fma_f64 v[66:67], v[62:63], -0.5, v[70:71]
	v_fma_f64 v[36:37], v[62:63], s[6:7], v[36:37]
	v_add_f64 v[42:43], v[58:59], v[46:47]
	v_add_f64 v[44:45], v[60:61], v[48:49]
	v_add_f64 v[46:47], v[58:59], -v[46:47]
	v_add_f64 v[48:49], v[60:61], -v[48:49]
	v_add_f64 v[50:51], v[56:57], v[54:55]
	v_add_f64 v[52:53], v[68:69], v[64:65]
	;; [unrolled: 1-line block ×4, first 2 shown]
	v_add_f64 v[54:55], v[56:57], -v[54:55]
	v_add_f64 v[56:57], v[68:69], -v[64:65]
	;; [unrolled: 1-line block ×4, first 2 shown]
	v_cmp_gt_u32_e64 s[0:1], 8, v28
	s_waitcnt lgkmcnt(0)
	; wave barrier
	s_waitcnt lgkmcnt(0)
	ds_write_b128 v78, v[42:45]
	ds_write_b128 v78, v[46:49] offset:48
	ds_write_b128 v78, v[50:53] offset:16
	;; [unrolled: 1-line block ×5, first 2 shown]
	s_and_saveexec_b64 s[8:9], s[0:1]
	s_cbranch_execz .LBB0_20
; %bb.19:
	v_add_f64 v[36:37], v[22:23], v[6:7]
	v_add_f64 v[46:47], v[20:21], v[4:5]
	v_add_f64 v[48:49], v[20:21], -v[4:5]
	v_add_f64 v[42:43], v[18:19], v[10:11]
	v_add_f64 v[50:51], v[22:23], -v[6:7]
	;; [unrolled: 2-line block ×3, first 2 shown]
	v_add_f64 v[18:19], v[18:19], -v[10:11]
	v_fma_f64 v[36:37], v[36:37], -0.5, v[14:15]
	v_add_f64 v[14:15], v[14:15], v[22:23]
	v_fma_f64 v[46:47], v[46:47], -0.5, v[12:13]
	v_add_f64 v[22:23], v[16:17], v[8:9]
	v_add_f64 v[16:17], v[0:1], v[16:17]
	v_fma_f64 v[2:3], v[42:43], -0.5, v[2:3]
	v_add_f64 v[12:13], v[12:13], v[20:21]
	v_add_f64 v[20:21], v[52:53], v[10:11]
	v_fma_f64 v[54:55], v[48:49], s[4:5], v[36:37]
	v_fma_f64 v[36:37], v[48:49], s[6:7], v[36:37]
	v_add_f64 v[42:43], v[14:15], v[6:7]
	v_fma_f64 v[6:7], v[50:51], s[6:7], v[46:47]
	v_fma_f64 v[10:11], v[50:51], s[4:5], v[46:47]
	v_fma_f64 v[0:1], v[22:23], -0.5, v[0:1]
	v_add_f64 v[8:9], v[16:17], v[8:9]
	v_fma_f64 v[16:17], v[44:45], s[4:5], v[2:3]
	v_mul_f64 v[14:15], v[54:55], -0.5
	v_mul_f64 v[46:47], v[36:37], 0.5
	v_mul_f64 v[36:37], v[36:37], s[4:5]
	v_fma_f64 v[22:23], v[44:45], s[6:7], v[2:3]
	v_mul_f64 v[44:45], v[54:55], s[4:5]
	v_add_f64 v[4:5], v[12:13], v[4:5]
	v_fma_f64 v[50:51], v[18:19], s[4:5], v[0:1]
	v_fma_f64 v[48:49], v[18:19], s[6:7], v[0:1]
	;; [unrolled: 1-line block ×4, first 2 shown]
	v_fma_f64 v[36:37], v[10:11], 0.5, v[36:37]
	v_add_f64 v[2:3], v[20:21], -v[42:43]
	v_fma_f64 v[44:45], v[6:7], -0.5, v[44:45]
	v_add_f64 v[0:1], v[8:9], -v[4:5]
	v_lshl_add_u32 v34, v34, 4, v35
	v_add_f64 v[6:7], v[16:17], -v[14:15]
	v_add_f64 v[10:11], v[22:23], -v[46:47]
	v_add_f64 v[18:19], v[22:23], v[46:47]
	v_add_f64 v[22:23], v[20:21], v[42:43]
	;; [unrolled: 1-line block ×6, first 2 shown]
	v_add_f64 v[8:9], v[50:51], -v[36:37]
	v_add_f64 v[4:5], v[48:49], -v[44:45]
	ds_write_b128 v34, v[20:23] offset:1152
	ds_write_b128 v34, v[16:19] offset:1168
	;; [unrolled: 1-line block ×6, first 2 shown]
.LBB0_20:
	s_or_b64 exec, exec, s[8:9]
	v_add_u32_e32 v8, -6, v28
	v_cmp_gt_u32_e64 s[0:1], 6, v28
	v_cndmask_b32_e64 v43, v8, v28, s[0:1]
	v_mul_i32_i24_e32 v8, 9, v43
	v_mov_b32_e32 v9, v29
	v_lshlrev_b64 v[8:9], 4, v[8:9]
	v_mul_i32_i24_e32 v4, 0xffffffb0, v28
	v_add_co_u32_e64 v76, s[0:1], s12, v8
	v_mov_b32_e32 v29, s13
	v_add3_u32 v42, v35, v4, v39
	v_addc_co_u32_e64 v77, s[0:1], v29, v9, s[0:1]
	s_waitcnt lgkmcnt(0)
	; wave barrier
	s_waitcnt lgkmcnt(0)
	ds_read_b128 v[0:3], v40
	ds_read_b128 v[4:7], v42 offset:192
	ds_read_b128 v[10:13], v42 offset:384
	;; [unrolled: 1-line block ×9, first 2 shown]
	global_load_dwordx4 v[60:63], v[76:77], off offset:48
	global_load_dwordx4 v[64:67], v[76:77], off offset:32
	;; [unrolled: 1-line block ×3, first 2 shown]
	global_load_dwordx4 v[72:75], v[76:77], off
	s_mov_b32 s0, 0x134454ff
	s_mov_b32 s1, 0xbfee6f0e
	s_mov_b32 s15, 0x3fee6f0e
	s_mov_b32 s14, s0
	s_mov_b32 s6, 0x4755a5e
	s_mov_b32 s7, 0xbfe2cf23
	s_mov_b32 s9, 0x3fe2cf23
	s_mov_b32 s8, s6
	s_mov_b32 s4, 0x372fe950
	s_mov_b32 s5, 0x3fd3c6ef
	s_mov_b32 s16, 0x9b97f4a8
	s_mov_b32 s17, 0x3fe9e377
	v_lshlrev_b32_e32 v43, 4, v43
	s_waitcnt vmcnt(0) lgkmcnt(8)
	v_mul_f64 v[8:9], v[6:7], v[74:75]
	v_fma_f64 v[18:19], v[4:5], v[72:73], v[8:9]
	v_mul_f64 v[4:5], v[4:5], v[74:75]
	v_fma_f64 v[8:9], v[6:7], v[72:73], -v[4:5]
	s_waitcnt lgkmcnt(7)
	v_mul_f64 v[4:5], v[12:13], v[70:71]
	s_waitcnt lgkmcnt(5)
	v_mul_f64 v[6:7], v[22:23], v[62:63]
	v_fma_f64 v[72:73], v[10:11], v[68:69], v[4:5]
	v_mul_f64 v[4:5], v[10:11], v[70:71]
	v_fma_f64 v[78:79], v[20:21], v[60:61], v[6:7]
	v_mul_f64 v[6:7], v[20:21], v[62:63]
	v_fma_f64 v[74:75], v[12:13], v[68:69], -v[4:5]
	v_mul_f64 v[4:5], v[16:17], v[66:67]
	v_fma_f64 v[80:81], v[22:23], v[60:61], -v[6:7]
	v_fma_f64 v[10:11], v[14:15], v[64:65], v[4:5]
	v_mul_f64 v[4:5], v[14:15], v[66:67]
	v_fma_f64 v[4:5], v[16:17], v[64:65], -v[4:5]
	global_load_dwordx4 v[60:63], v[76:77], off offset:112
	global_load_dwordx4 v[14:17], v[76:77], off offset:96
	;; [unrolled: 1-line block ×4, first 2 shown]
	s_waitcnt vmcnt(0) lgkmcnt(4)
	v_mul_f64 v[6:7], v[36:37], v[70:71]
	v_fma_f64 v[20:21], v[34:35], v[68:69], v[6:7]
	v_mul_f64 v[6:7], v[34:35], v[70:71]
	v_fma_f64 v[12:13], v[36:37], v[68:69], -v[6:7]
	s_waitcnt lgkmcnt(3)
	v_mul_f64 v[6:7], v[46:47], v[66:67]
	v_fma_f64 v[68:69], v[44:45], v[64:65], v[6:7]
	v_mul_f64 v[6:7], v[44:45], v[66:67]
	v_add_f64 v[66:67], v[10:11], -v[20:21]
	v_fma_f64 v[64:65], v[46:47], v[64:65], -v[6:7]
	global_load_dwordx4 v[44:47], v[76:77], off offset:128
	s_waitcnt lgkmcnt(2)
	v_mul_f64 v[6:7], v[50:51], v[16:17]
	s_waitcnt lgkmcnt(0)
	; wave barrier
	s_waitcnt lgkmcnt(0)
	v_fma_f64 v[36:37], v[48:49], v[14:15], v[6:7]
	v_mul_f64 v[6:7], v[48:49], v[16:17]
	v_fma_f64 v[16:17], v[50:51], v[14:15], -v[6:7]
	v_mul_f64 v[6:7], v[54:55], v[62:63]
	v_add_f64 v[14:15], v[78:79], v[68:69]
	v_fma_f64 v[48:49], v[52:53], v[60:61], v[6:7]
	v_mul_f64 v[6:7], v[52:53], v[62:63]
	v_fma_f64 v[22:23], v[14:15], -0.5, v[0:1]
	v_fma_f64 v[50:51], v[54:55], v[60:61], -v[6:7]
	v_add_f64 v[54:55], v[72:73], -v[78:79]
	v_add_f64 v[60:61], v[74:75], -v[80:81]
	v_add_f64 v[62:63], v[50:51], -v[64:65]
	v_add_f64 v[60:61], v[60:61], v[62:63]
	s_waitcnt vmcnt(0)
	v_mul_f64 v[6:7], v[58:59], v[46:47]
	v_fma_f64 v[52:53], v[56:57], v[44:45], v[6:7]
	v_mul_f64 v[6:7], v[56:57], v[46:47]
	v_add_f64 v[46:47], v[80:81], -v[64:65]
	v_add_f64 v[56:57], v[48:49], -v[68:69]
	;; [unrolled: 1-line block ×3, first 2 shown]
	v_fma_f64 v[34:35], v[58:59], v[44:45], -v[6:7]
	v_add_f64 v[44:45], v[74:75], -v[50:51]
	v_add_f64 v[54:55], v[54:55], v[56:57]
	v_add_f64 v[6:7], v[0:1], v[72:73]
	v_add_f64 v[56:57], v[78:79], -v[72:73]
	v_add_f64 v[58:59], v[68:69], -v[48:49]
	v_fma_f64 v[14:15], v[44:45], s[0:1], v[22:23]
	v_fma_f64 v[22:23], v[44:45], s[14:15], v[22:23]
	v_add_f64 v[6:7], v[6:7], v[78:79]
	v_add_f64 v[56:57], v[56:57], v[58:59]
	v_fma_f64 v[14:15], v[46:47], s[6:7], v[14:15]
	v_fma_f64 v[22:23], v[46:47], s[8:9], v[22:23]
	v_add_f64 v[6:7], v[6:7], v[68:69]
	v_fma_f64 v[14:15], v[54:55], s[4:5], v[14:15]
	v_fma_f64 v[22:23], v[54:55], s[4:5], v[22:23]
	v_add_f64 v[54:55], v[72:73], v[48:49]
	v_add_f64 v[6:7], v[6:7], v[48:49]
	v_fma_f64 v[0:1], v[54:55], -0.5, v[0:1]
	v_fma_f64 v[54:55], v[46:47], s[14:15], v[0:1]
	v_fma_f64 v[0:1], v[46:47], s[0:1], v[0:1]
	v_fma_f64 v[54:55], v[44:45], s[6:7], v[54:55]
	v_fma_f64 v[0:1], v[44:45], s[8:9], v[0:1]
	v_add_f64 v[44:45], v[72:73], -v[48:49]
	v_add_f64 v[48:49], v[78:79], -v[68:69]
	;; [unrolled: 1-line block ×3, first 2 shown]
	v_fma_f64 v[54:55], v[56:57], s[4:5], v[54:55]
	v_fma_f64 v[56:57], v[56:57], s[4:5], v[0:1]
	v_add_f64 v[0:1], v[2:3], v[74:75]
	v_add_f64 v[66:67], v[66:67], v[68:69]
	v_add_f64 v[0:1], v[0:1], v[80:81]
	v_add_f64 v[0:1], v[0:1], v[64:65]
	v_add_f64 v[58:59], v[0:1], v[50:51]
	v_add_f64 v[0:1], v[80:81], v[64:65]
	v_fma_f64 v[0:1], v[0:1], -0.5, v[2:3]
	v_fma_f64 v[46:47], v[44:45], s[14:15], v[0:1]
	v_fma_f64 v[0:1], v[44:45], s[0:1], v[0:1]
	;; [unrolled: 1-line block ×6, first 2 shown]
	v_add_f64 v[0:1], v[74:75], v[50:51]
	v_add_f64 v[46:47], v[80:81], -v[74:75]
	v_add_f64 v[50:51], v[64:65], -v[50:51]
	v_fma_f64 v[0:1], v[0:1], -0.5, v[2:3]
	v_add_f64 v[46:47], v[46:47], v[50:51]
	v_fma_f64 v[2:3], v[48:49], s[0:1], v[0:1]
	v_fma_f64 v[0:1], v[48:49], s[14:15], v[0:1]
	;; [unrolled: 1-line block ×6, first 2 shown]
	v_add_f64 v[0:1], v[18:19], v[10:11]
	v_add_f64 v[2:3], v[4:5], -v[34:35]
	v_add_f64 v[46:47], v[12:13], -v[16:17]
	v_add_f64 v[0:1], v[0:1], v[20:21]
	v_add_f64 v[0:1], v[0:1], v[36:37]
	;; [unrolled: 1-line block ×4, first 2 shown]
	v_fma_f64 v[0:1], v[0:1], -0.5, v[18:19]
	v_fma_f64 v[44:45], v[2:3], s[0:1], v[0:1]
	v_fma_f64 v[0:1], v[2:3], s[14:15], v[0:1]
	v_fma_f64 v[44:45], v[46:47], s[6:7], v[44:45]
	v_fma_f64 v[0:1], v[46:47], s[8:9], v[0:1]
	v_fma_f64 v[68:69], v[66:67], s[4:5], v[44:45]
	v_fma_f64 v[66:67], v[66:67], s[4:5], v[0:1]
	v_add_f64 v[0:1], v[10:11], v[52:53]
	v_add_f64 v[44:45], v[20:21], -v[10:11]
	v_add_f64 v[20:21], v[20:21], -v[36:37]
	;; [unrolled: 1-line block ×3, first 2 shown]
	v_fma_f64 v[0:1], v[0:1], -0.5, v[18:19]
	v_add_f64 v[44:45], v[44:45], v[70:71]
	v_fma_f64 v[18:19], v[46:47], s[14:15], v[0:1]
	v_fma_f64 v[0:1], v[46:47], s[0:1], v[0:1]
	;; [unrolled: 1-line block ×4, first 2 shown]
	v_add_f64 v[2:3], v[10:11], -v[52:53]
	v_fma_f64 v[18:19], v[44:45], s[4:5], v[18:19]
	v_fma_f64 v[46:47], v[44:45], s[4:5], v[0:1]
	v_add_f64 v[0:1], v[8:9], v[4:5]
	v_add_f64 v[44:45], v[34:35], -v[16:17]
	v_add_f64 v[0:1], v[0:1], v[12:13]
	v_add_f64 v[36:37], v[36:37], v[44:45]
	;; [unrolled: 1-line block ×5, first 2 shown]
	v_fma_f64 v[0:1], v[0:1], -0.5, v[8:9]
	v_fma_f64 v[10:11], v[2:3], s[14:15], v[0:1]
	v_fma_f64 v[0:1], v[2:3], s[0:1], v[0:1]
	;; [unrolled: 1-line block ×6, first 2 shown]
	v_add_f64 v[0:1], v[4:5], v[34:35]
	v_add_f64 v[4:5], v[12:13], -v[4:5]
	v_add_f64 v[12:13], v[16:17], -v[34:35]
	v_fma_f64 v[0:1], v[0:1], -0.5, v[8:9]
	v_add_f64 v[4:5], v[4:5], v[12:13]
	v_fma_f64 v[8:9], v[20:21], s[0:1], v[0:1]
	v_fma_f64 v[0:1], v[20:21], s[14:15], v[0:1]
	;; [unrolled: 1-line block ×4, first 2 shown]
	v_mul_f64 v[2:3], v[10:11], s[6:7]
	v_mul_f64 v[10:11], v[10:11], s[16:17]
	v_fma_f64 v[12:13], v[4:5], s[4:5], v[8:9]
	v_fma_f64 v[4:5], v[4:5], s[4:5], v[0:1]
	;; [unrolled: 1-line block ×4, first 2 shown]
	v_add_f64 v[0:1], v[6:7], v[48:49]
	v_mul_f64 v[2:3], v[12:13], s[0:1]
	v_mul_f64 v[12:13], v[12:13], s[4:5]
	v_add_f64 v[8:9], v[14:15], v[20:21]
	v_add_f64 v[10:11], v[62:63], v[68:69]
	v_fma_f64 v[72:73], v[18:19], s[4:5], v[2:3]
	v_mul_f64 v[2:3], v[4:5], s[0:1]
	s_mov_b32 s1, 0xbfd3c6ef
	s_mov_b32 s0, s4
	v_mul_f64 v[4:5], v[4:5], s[0:1]
	v_fma_f64 v[78:79], v[18:19], s[14:15], v[12:13]
	v_add_f64 v[12:13], v[14:15], -v[20:21]
	v_add_f64 v[14:15], v[62:63], -v[68:69]
	v_add_f64 v[16:17], v[54:55], v[72:73]
	v_fma_f64 v[74:75], v[46:47], s[0:1], v[2:3]
	v_mul_f64 v[2:3], v[52:53], s[6:7]
	s_mov_b32 s7, 0xbfe9e377
	s_mov_b32 s6, s16
	v_fma_f64 v[80:81], v[46:47], s[14:15], v[4:5]
	v_mul_f64 v[4:5], v[52:53], s[6:7]
	v_add_f64 v[18:19], v[50:51], v[78:79]
	v_cmp_lt_u32_e64 s[0:1], 5, v28
	v_add_f64 v[34:35], v[56:57], v[74:75]
	v_fma_f64 v[76:77], v[66:67], s[6:7], v[2:3]
	v_add_f64 v[2:3], v[58:59], v[70:71]
	v_add_f64 v[20:21], v[54:55], -v[72:73]
	v_add_f64 v[36:37], v[64:65], v[80:81]
	v_fma_f64 v[66:67], v[66:67], s[8:9], v[4:5]
	v_add_f64 v[4:5], v[6:7], -v[48:49]
	v_add_f64 v[48:49], v[56:57], -v[74:75]
	v_mov_b32_e32 v56, 0x3c0
	v_add_f64 v[44:45], v[22:23], v[76:77]
	v_add_f64 v[6:7], v[58:59], -v[70:71]
	v_cndmask_b32_e64 v56, 0, v56, s[0:1]
	v_add_u32_e32 v56, 0, v56
	v_add_f64 v[46:47], v[60:61], v[66:67]
	v_add_co_u32_e64 v30, s[0:1], s12, v30
	v_add_f64 v[52:53], v[22:23], -v[76:77]
	v_add_f64 v[22:23], v[50:51], -v[78:79]
	;; [unrolled: 1-line block ×4, first 2 shown]
	v_add3_u32 v39, v56, v43, v39
	v_addc_co_u32_e64 v31, s[0:1], v29, v31, s[0:1]
	ds_write_b128 v39, v[0:3]
	ds_write_b128 v39, v[8:11] offset:96
	ds_write_b128 v39, v[16:19] offset:192
	ds_write_b128 v39, v[34:37] offset:288
	ds_write_b128 v39, v[44:47] offset:384
	ds_write_b128 v39, v[4:7] offset:480
	ds_write_b128 v39, v[12:15] offset:576
	ds_write_b128 v39, v[20:23] offset:672
	ds_write_b128 v39, v[48:51] offset:768
	ds_write_b128 v39, v[52:55] offset:864
	s_waitcnt lgkmcnt(0)
	; wave barrier
	s_waitcnt lgkmcnt(0)
	ds_read_b128 v[0:3], v40
	ds_read_b128 v[4:7], v41 offset:960
	ds_read_b128 v[8:11], v42 offset:192
	;; [unrolled: 1-line block ×9, first 2 shown]
	global_load_dwordx4 v[55:58], v[30:31], off offset:864
	v_add_co_u32_e64 v32, s[0:1], s12, v32
	v_addc_co_u32_e64 v33, s[0:1], v29, v33, s[0:1]
	s_waitcnt vmcnt(0) lgkmcnt(8)
	v_mul_f64 v[30:31], v[6:7], v[57:58]
	v_fma_f64 v[30:31], v[4:5], v[55:56], v[30:31]
	v_mul_f64 v[4:5], v[4:5], v[57:58]
	v_fma_f64 v[39:40], v[6:7], v[55:56], -v[4:5]
	global_load_dwordx4 v[4:7], v[32:33], off offset:1056
	s_waitcnt vmcnt(0) lgkmcnt(6)
	v_mul_f64 v[55:56], v[14:15], v[6:7]
	v_mul_f64 v[6:7], v[12:13], v[6:7]
	v_fma_f64 v[55:56], v[12:13], v[4:5], v[55:56]
	v_fma_f64 v[12:13], v[14:15], v[4:5], -v[6:7]
	global_load_dwordx4 v[4:7], v[32:33], off offset:1248
	s_waitcnt vmcnt(0) lgkmcnt(4)
	v_mul_f64 v[14:15], v[22:23], v[6:7]
	v_mul_f64 v[6:7], v[20:21], v[6:7]
	v_fma_f64 v[14:15], v[20:21], v[4:5], v[14:15]
	;; [unrolled: 6-line block ×3, first 2 shown]
	v_fma_f64 v[43:44], v[45:46], v[4:5], -v[6:7]
	global_load_dwordx4 v[4:7], v[32:33], off offset:1632
	s_waitcnt lgkmcnt(0)
	; wave barrier
	s_waitcnt lgkmcnt(0)
	v_add_f64 v[43:44], v[36:37], -v[43:44]
	s_waitcnt vmcnt(0)
	v_mul_f64 v[32:33], v[53:54], v[6:7]
	v_mul_f64 v[6:7], v[51:52], v[6:7]
	v_fma_f64 v[32:33], v[51:52], v[4:5], v[32:33]
	v_fma_f64 v[45:46], v[53:54], v[4:5], -v[6:7]
	v_add_f64 v[4:5], v[0:1], -v[30:31]
	v_add_f64 v[6:7], v[2:3], -v[39:40]
	;; [unrolled: 1-line block ×8, first 2 shown]
	v_fma_f64 v[0:1], v[0:1], 2.0, -v[4:5]
	v_fma_f64 v[2:3], v[2:3], 2.0, -v[6:7]
	;; [unrolled: 1-line block ×5, first 2 shown]
	v_add_f64 v[33:34], v[49:50], -v[45:46]
	v_fma_f64 v[10:11], v[10:11], 2.0, -v[39:40]
	v_fma_f64 v[14:15], v[18:19], 2.0, -v[53:54]
	;; [unrolled: 1-line block ×5, first 2 shown]
	ds_write_b128 v41, v[0:3]
	ds_write_b128 v41, v[4:7] offset:960
	ds_write_b128 v42, v[8:11] offset:192
	ds_write2_b64 v42, v[29:30], v[39:40] offset0:144 offset1:145
	ds_write_b128 v42, v[12:15] offset:384
	ds_write2_b64 v42, v[51:52], v[53:54] offset0:168 offset1:169
	;; [unrolled: 2-line block ×4, first 2 shown]
	s_waitcnt lgkmcnt(0)
	; wave barrier
	s_waitcnt lgkmcnt(0)
	s_and_saveexec_b64 s[0:1], vcc
	s_cbranch_execz .LBB0_22
; %bb.21:
	v_mul_lo_u32 v0, s3, v26
	v_mul_lo_u32 v1, s2, v27
	v_mad_u64_u32 v[4:5], s[0:1], s2, v26, 0
	v_mov_b32_e32 v6, s11
	v_lshl_add_u32 v10, v28, 4, v38
	v_add3_u32 v5, v5, v1, v0
	v_lshlrev_b64 v[4:5], 4, v[4:5]
	v_mov_b32_e32 v29, 0
	v_add_co_u32_e32 v7, vcc, s10, v4
	v_addc_co_u32_e32 v6, vcc, v6, v5, vcc
	v_lshlrev_b64 v[4:5], 4, v[24:25]
	ds_read_b128 v[0:3], v10
	v_add_co_u32_e32 v11, vcc, v7, v4
	v_addc_co_u32_e32 v12, vcc, v6, v5, vcc
	v_lshlrev_b64 v[4:5], 4, v[28:29]
	v_add_co_u32_e32 v8, vcc, v11, v4
	v_addc_co_u32_e32 v9, vcc, v12, v5, vcc
	ds_read_b128 v[4:7], v10 offset:192
	s_waitcnt lgkmcnt(1)
	global_store_dwordx4 v[8:9], v[0:3], off
	s_nop 0
	v_add_u32_e32 v0, 12, v28
	v_mov_b32_e32 v1, v29
	v_lshlrev_b64 v[0:1], 4, v[0:1]
	v_add_co_u32_e32 v0, vcc, v11, v0
	v_addc_co_u32_e32 v1, vcc, v12, v1, vcc
	s_waitcnt lgkmcnt(0)
	global_store_dwordx4 v[0:1], v[4:7], off
	ds_read_b128 v[0:3], v10 offset:384
	v_add_u32_e32 v4, 24, v28
	v_mov_b32_e32 v5, v29
	v_lshlrev_b64 v[4:5], 4, v[4:5]
	v_add_co_u32_e32 v8, vcc, v11, v4
	v_addc_co_u32_e32 v9, vcc, v12, v5, vcc
	ds_read_b128 v[4:7], v10 offset:576
	s_waitcnt lgkmcnt(1)
	global_store_dwordx4 v[8:9], v[0:3], off
	s_nop 0
	v_add_u32_e32 v0, 36, v28
	v_mov_b32_e32 v1, v29
	v_lshlrev_b64 v[0:1], 4, v[0:1]
	v_add_co_u32_e32 v0, vcc, v11, v0
	v_addc_co_u32_e32 v1, vcc, v12, v1, vcc
	s_waitcnt lgkmcnt(0)
	global_store_dwordx4 v[0:1], v[4:7], off
	ds_read_b128 v[0:3], v10 offset:768
	v_add_u32_e32 v4, 48, v28
	v_mov_b32_e32 v5, v29
	;; [unrolled: 17-line block ×4, first 2 shown]
	v_lshlrev_b64 v[4:5], 4, v[4:5]
	v_add_u32_e32 v28, 0x6c, v28
	v_add_co_u32_e32 v8, vcc, v11, v4
	v_addc_co_u32_e32 v9, vcc, v12, v5, vcc
	ds_read_b128 v[4:7], v10 offset:1728
	s_waitcnt lgkmcnt(1)
	global_store_dwordx4 v[8:9], v[0:3], off
	s_nop 0
	v_lshlrev_b64 v[0:1], 4, v[28:29]
	v_add_co_u32_e32 v0, vcc, v11, v0
	v_addc_co_u32_e32 v1, vcc, v12, v1, vcc
	s_waitcnt lgkmcnt(0)
	global_store_dwordx4 v[0:1], v[4:7], off
.LBB0_22:
	s_endpgm
	.section	.rodata,"a",@progbits
	.p2align	6, 0x0
	.amdhsa_kernel fft_rtc_back_len120_factors_6_10_2_wgs_60_tpt_12_halfLds_dp_op_CI_CI_unitstride_sbrr_C2R_dirReg
		.amdhsa_group_segment_fixed_size 0
		.amdhsa_private_segment_fixed_size 0
		.amdhsa_kernarg_size 104
		.amdhsa_user_sgpr_count 6
		.amdhsa_user_sgpr_private_segment_buffer 1
		.amdhsa_user_sgpr_dispatch_ptr 0
		.amdhsa_user_sgpr_queue_ptr 0
		.amdhsa_user_sgpr_kernarg_segment_ptr 1
		.amdhsa_user_sgpr_dispatch_id 0
		.amdhsa_user_sgpr_flat_scratch_init 0
		.amdhsa_user_sgpr_private_segment_size 0
		.amdhsa_uses_dynamic_stack 0
		.amdhsa_system_sgpr_private_segment_wavefront_offset 0
		.amdhsa_system_sgpr_workgroup_id_x 1
		.amdhsa_system_sgpr_workgroup_id_y 0
		.amdhsa_system_sgpr_workgroup_id_z 0
		.amdhsa_system_sgpr_workgroup_info 0
		.amdhsa_system_vgpr_workitem_id 0
		.amdhsa_next_free_vgpr 82
		.amdhsa_next_free_sgpr 28
		.amdhsa_reserve_vcc 1
		.amdhsa_reserve_flat_scratch 0
		.amdhsa_float_round_mode_32 0
		.amdhsa_float_round_mode_16_64 0
		.amdhsa_float_denorm_mode_32 3
		.amdhsa_float_denorm_mode_16_64 3
		.amdhsa_dx10_clamp 1
		.amdhsa_ieee_mode 1
		.amdhsa_fp16_overflow 0
		.amdhsa_exception_fp_ieee_invalid_op 0
		.amdhsa_exception_fp_denorm_src 0
		.amdhsa_exception_fp_ieee_div_zero 0
		.amdhsa_exception_fp_ieee_overflow 0
		.amdhsa_exception_fp_ieee_underflow 0
		.amdhsa_exception_fp_ieee_inexact 0
		.amdhsa_exception_int_div_zero 0
	.end_amdhsa_kernel
	.text
.Lfunc_end0:
	.size	fft_rtc_back_len120_factors_6_10_2_wgs_60_tpt_12_halfLds_dp_op_CI_CI_unitstride_sbrr_C2R_dirReg, .Lfunc_end0-fft_rtc_back_len120_factors_6_10_2_wgs_60_tpt_12_halfLds_dp_op_CI_CI_unitstride_sbrr_C2R_dirReg
                                        ; -- End function
	.section	.AMDGPU.csdata,"",@progbits
; Kernel info:
; codeLenInByte = 6796
; NumSgprs: 32
; NumVgprs: 82
; ScratchSize: 0
; MemoryBound: 0
; FloatMode: 240
; IeeeMode: 1
; LDSByteSize: 0 bytes/workgroup (compile time only)
; SGPRBlocks: 3
; VGPRBlocks: 20
; NumSGPRsForWavesPerEU: 32
; NumVGPRsForWavesPerEU: 82
; Occupancy: 3
; WaveLimiterHint : 1
; COMPUTE_PGM_RSRC2:SCRATCH_EN: 0
; COMPUTE_PGM_RSRC2:USER_SGPR: 6
; COMPUTE_PGM_RSRC2:TRAP_HANDLER: 0
; COMPUTE_PGM_RSRC2:TGID_X_EN: 1
; COMPUTE_PGM_RSRC2:TGID_Y_EN: 0
; COMPUTE_PGM_RSRC2:TGID_Z_EN: 0
; COMPUTE_PGM_RSRC2:TIDIG_COMP_CNT: 0
	.type	__hip_cuid_78fbb4fa3b3c4caa,@object ; @__hip_cuid_78fbb4fa3b3c4caa
	.section	.bss,"aw",@nobits
	.globl	__hip_cuid_78fbb4fa3b3c4caa
__hip_cuid_78fbb4fa3b3c4caa:
	.byte	0                               ; 0x0
	.size	__hip_cuid_78fbb4fa3b3c4caa, 1

	.ident	"AMD clang version 19.0.0git (https://github.com/RadeonOpenCompute/llvm-project roc-6.4.0 25133 c7fe45cf4b819c5991fe208aaa96edf142730f1d)"
	.section	".note.GNU-stack","",@progbits
	.addrsig
	.addrsig_sym __hip_cuid_78fbb4fa3b3c4caa
	.amdgpu_metadata
---
amdhsa.kernels:
  - .args:
      - .actual_access:  read_only
        .address_space:  global
        .offset:         0
        .size:           8
        .value_kind:     global_buffer
      - .offset:         8
        .size:           8
        .value_kind:     by_value
      - .actual_access:  read_only
        .address_space:  global
        .offset:         16
        .size:           8
        .value_kind:     global_buffer
      - .actual_access:  read_only
        .address_space:  global
        .offset:         24
        .size:           8
        .value_kind:     global_buffer
      - .actual_access:  read_only
        .address_space:  global
        .offset:         32
        .size:           8
        .value_kind:     global_buffer
      - .offset:         40
        .size:           8
        .value_kind:     by_value
      - .actual_access:  read_only
        .address_space:  global
        .offset:         48
        .size:           8
        .value_kind:     global_buffer
      - .actual_access:  read_only
        .address_space:  global
        .offset:         56
        .size:           8
        .value_kind:     global_buffer
      - .offset:         64
        .size:           4
        .value_kind:     by_value
      - .actual_access:  read_only
        .address_space:  global
        .offset:         72
        .size:           8
        .value_kind:     global_buffer
      - .actual_access:  read_only
        .address_space:  global
        .offset:         80
        .size:           8
        .value_kind:     global_buffer
      - .actual_access:  read_only
        .address_space:  global
        .offset:         88
        .size:           8
        .value_kind:     global_buffer
      - .actual_access:  write_only
        .address_space:  global
        .offset:         96
        .size:           8
        .value_kind:     global_buffer
    .group_segment_fixed_size: 0
    .kernarg_segment_align: 8
    .kernarg_segment_size: 104
    .language:       OpenCL C
    .language_version:
      - 2
      - 0
    .max_flat_workgroup_size: 60
    .name:           fft_rtc_back_len120_factors_6_10_2_wgs_60_tpt_12_halfLds_dp_op_CI_CI_unitstride_sbrr_C2R_dirReg
    .private_segment_fixed_size: 0
    .sgpr_count:     32
    .sgpr_spill_count: 0
    .symbol:         fft_rtc_back_len120_factors_6_10_2_wgs_60_tpt_12_halfLds_dp_op_CI_CI_unitstride_sbrr_C2R_dirReg.kd
    .uniform_work_group_size: 1
    .uses_dynamic_stack: false
    .vgpr_count:     82
    .vgpr_spill_count: 0
    .wavefront_size: 64
amdhsa.target:   amdgcn-amd-amdhsa--gfx906
amdhsa.version:
  - 1
  - 2
...

	.end_amdgpu_metadata
